;; amdgpu-corpus repo=tuanlda78202/gpt-oss-amd kind=compiled arch=gfx1100 opt=O3
	.text
	.amdgcn_target "amdgcn-amd-amdhsa--gfx1100"
	.amdhsa_code_object_version 6
	.section	.text._Z16split_qkv_kernelILi4EEvPKfPfPvS3_iiiiiPKiiS5_xiiPKxS5_S5_,"axG",@progbits,_Z16split_qkv_kernelILi4EEvPKfPfPvS3_iiiiiPKiiS5_xiiPKxS5_S5_,comdat
	.protected	_Z16split_qkv_kernelILi4EEvPKfPfPvS3_iiiiiPKiiS5_xiiPKxS5_S5_ ; -- Begin function _Z16split_qkv_kernelILi4EEvPKfPfPvS3_iiiiiPKiiS5_xiiPKxS5_S5_
	.globl	_Z16split_qkv_kernelILi4EEvPKfPfPvS3_iiiiiPKiiS5_xiiPKxS5_S5_
	.p2align	8
	.type	_Z16split_qkv_kernelILi4EEvPKfPfPvS3_iiiiiPKiiS5_xiiPKxS5_S5_,@function
_Z16split_qkv_kernelILi4EEvPKfPfPvS3_iiiiiPKiiS5_xiiPKxS5_S5_: ; @_Z16split_qkv_kernelILi4EEvPKfPfPvS3_iiiiiPKiiS5_xiiPKxS5_S5_
; %bb.0:
	s_load_b128 s[4:7], s[0:1], 0x20
	s_waitcnt lgkmcnt(0)
	s_cmp_ge_i32 s15, s4
	s_cbranch_scc1 .LBB0_57
; %bb.1:
	s_clause 0x3
	s_load_b32 s16, s[0:1], 0x30
	s_load_b128 s[8:11], s[0:1], 0x60
	s_load_b64 s[18:19], s[0:1], 0x70
	s_load_b64 s[20:21], s[0:1], 0x38
	s_mov_b32 s2, s15
	s_clause 0x1
	s_load_b64 s[12:13], s[0:1], 0x0
	s_load_b32 s4, s[0:1], 0x84
	s_waitcnt lgkmcnt(0)
	s_ashr_i32 s17, s16, 31
	s_delay_alu instid0(SALU_CYCLE_1) | instskip(NEXT) | instid1(SALU_CYCLE_1)
	s_lshl_b64 s[22:23], s[16:17], 3
	s_add_u32 s8, s8, s22
	s_addc_u32 s9, s9, s23
	s_load_b64 s[22:23], s[0:1], 0x48
	s_lshl_b64 s[16:17], s[16:17], 2
	s_delay_alu instid0(SALU_CYCLE_1) | instskip(SKIP_4) | instid1(SALU_CYCLE_1)
	s_add_u32 s10, s10, s16
	s_addc_u32 s11, s11, s17
	s_add_u32 s16, s18, s16
	s_addc_u32 s17, s19, s17
	s_ashr_i32 s3, s15, 31
	s_lshl_b64 s[18:19], s[2:3], 2
	s_load_b32 s3, s[16:17], 0x0
	s_add_u32 s16, s20, s18
	s_addc_u32 s17, s21, s19
	s_load_b32 s15, s[10:11], 0x0
	s_load_b32 s16, s[16:17], 0x0
	s_waitcnt lgkmcnt(0)
	s_add_u32 s10, s22, s18
	s_addc_u32 s11, s23, s19
	s_cmp_eq_u32 s3, 0
	s_cbranch_scc1 .LBB0_3
; %bb.2:
	s_abs_i32 s3, s15
	s_abs_i32 s19, s16
	v_cvt_f32_u32_e32 v1, s3
	s_sub_i32 s18, 0, s3
	s_ashr_i32 s16, s16, 31
	s_delay_alu instid0(VALU_DEP_1) | instskip(SKIP_2) | instid1(VALU_DEP_1)
	v_rcp_iflag_f32_e32 v1, v1
	s_waitcnt_depctr 0xfff
	v_mul_f32_e32 v1, 0x4f7ffffe, v1
	v_cvt_u32_f32_e32 v1, v1
	s_delay_alu instid0(VALU_DEP_1) | instskip(NEXT) | instid1(VALU_DEP_1)
	v_readfirstlane_b32 s17, v1
	s_mul_i32 s18, s18, s17
	s_delay_alu instid0(SALU_CYCLE_1) | instskip(NEXT) | instid1(SALU_CYCLE_1)
	s_mul_hi_u32 s18, s17, s18
	s_add_i32 s17, s17, s18
	s_delay_alu instid0(SALU_CYCLE_1) | instskip(NEXT) | instid1(SALU_CYCLE_1)
	s_mul_hi_u32 s17, s19, s17
	s_mul_i32 s17, s17, s3
	s_delay_alu instid0(SALU_CYCLE_1) | instskip(NEXT) | instid1(SALU_CYCLE_1)
	s_sub_i32 s17, s19, s17
	s_sub_i32 s18, s17, s3
	s_cmp_ge_u32 s17, s3
	s_cselect_b32 s17, s18, s17
	s_delay_alu instid0(SALU_CYCLE_1) | instskip(SKIP_2) | instid1(SALU_CYCLE_1)
	s_sub_i32 s18, s17, s3
	s_cmp_ge_u32 s17, s3
	s_cselect_b32 s3, s18, s17
	s_xor_b32 s3, s3, s16
	s_delay_alu instid0(SALU_CYCLE_1)
	s_sub_i32 s16, s3, s16
.LBB0_3:
	s_and_b32 s3, 0xffff, s4
	s_mul_i32 s4, s6, s5
	v_mad_u64_u32 v[1:2], null, s14, s3, v[0:1]
	s_lshl_b32 s3, s7, 1
	s_delay_alu instid0(SALU_CYCLE_1) | instskip(NEXT) | instid1(SALU_CYCLE_1)
	s_add_i32 s3, s3, s6
	s_mul_i32 s3, s3, s5
	s_delay_alu instid0(SALU_CYCLE_1) | instskip(SKIP_1) | instid1(VALU_DEP_1)
	s_mul_hi_i32 s19, s3, s2
	s_mul_i32 s18, s3, s2
	v_lshlrev_b32_e32 v0, 2, v1
	s_lshl_b64 s[6:7], s[18:19], 2
	s_mov_b32 s3, exec_lo
	s_add_u32 s12, s12, s6
	s_addc_u32 s13, s13, s7
	s_ashr_i32 s5, s4, 31
	v_cmpx_gt_i32_e64 s4, v0
	s_cbranch_execz .LBB0_5
; %bb.4:
	v_ashrrev_i32_e32 v2, 31, v1
	s_load_b64 s[6:7], s[0:1], 0x8
	s_mul_hi_i32 s19, s4, s2
	s_mul_i32 s18, s4, s2
	s_delay_alu instid0(SALU_CYCLE_1) | instskip(SKIP_1) | instid1(VALU_DEP_1)
	s_lshl_b64 s[18:19], s[18:19], 2
	v_lshlrev_b64 v[5:6], 4, v[1:2]
	v_add_co_u32 v1, vcc_lo, s12, v5
	s_delay_alu instid0(VALU_DEP_2)
	v_add_co_ci_u32_e32 v2, vcc_lo, s13, v6, vcc_lo
	global_load_b128 v[1:4], v[1:2], off
	s_waitcnt lgkmcnt(0)
	s_add_u32 s2, s6, s18
	s_addc_u32 s6, s7, s19
	v_add_co_u32 v5, vcc_lo, s2, v5
	v_add_co_ci_u32_e32 v6, vcc_lo, s6, v6, vcc_lo
	s_waitcnt vmcnt(0)
	global_store_b128 v[5:6], v[1:4], off
.LBB0_5:
	s_or_b32 exec_lo, exec_lo, s3
	s_load_b64 s[2:3], s[0:1], 0x58
	s_mov_b32 s6, exec_lo
	s_waitcnt lgkmcnt(0)
	v_cmpx_gt_i32_e64 s2, v0
	s_cbranch_execz .LBB0_57
; %bb.6:
	s_load_b32 s10, s[10:11], 0x0
	s_load_b64 s[6:7], s[8:9], 0x0
	s_cmp_lg_u32 s3, 0
	s_load_b128 s[20:23], s[0:1], 0x10
	s_cselect_b32 s8, -1, 0
	s_ashr_i32 s11, s2, 31
	s_ashr_i32 s0, s16, 31
	v_ashrrev_i32_e32 v1, 31, v0
	s_delay_alu instid0(VALU_DEP_1)
	v_lshlrev_b64 v[2:3], 2, v[0:1]
	s_waitcnt lgkmcnt(0)
	s_mul_i32 s1, s10, s15
	s_mul_hi_i32 s9, s10, s15
	s_add_u32 s1, s1, s16
	s_addc_u32 s0, s9, s0
	s_mul_i32 s9, s1, s11
	s_mul_hi_u32 s10, s1, s2
	s_mul_i32 s0, s0, s2
	s_add_i32 s9, s10, s9
	s_mul_i32 s1, s1, s2
	s_add_i32 s9, s9, s0
	s_add_u32 s0, s1, s6
	s_addc_u32 s1, s9, s7
	s_cmp_eq_u32 s3, 0
	s_mov_b32 s10, s2
	s_cselect_b32 s3, -1, 0
	s_delay_alu instid0(SALU_CYCLE_1) | instskip(SKIP_1) | instid1(SALU_CYCLE_1)
	s_and_b32 vcc_lo, s3, exec_lo
	s_cselect_b32 s3, 2, 1
	s_lshl_b64 s[6:7], s[0:1], s3
	s_delay_alu instid0(SALU_CYCLE_1) | instskip(SKIP_4) | instid1(SALU_CYCLE_1)
	s_add_u32 s1, s20, s6
	s_addc_u32 s3, s21, s7
	s_add_u32 s6, s22, s6
	s_addc_u32 s7, s23, s7
	s_lshl_b64 s[4:5], s[4:5], 2
	s_add_u32 s0, s12, s4
	s_addc_u32 s9, s13, s5
	s_lshl_b64 s[4:5], s[10:11], 2
	s_delay_alu instid0(SALU_CYCLE_1) | instskip(SKIP_1) | instid1(VALU_DEP_1)
	s_add_u32 s4, s0, s4
	v_add_co_u32 v4, s0, s0, v2
	v_add_co_ci_u32_e64 v5, s0, s9, v3, s0
	s_addc_u32 s0, s9, s5
	s_mov_b32 s5, -1
	s_cbranch_vccnz .LBB0_16
; %bb.7:
	global_load_b32 v6, v[4:5], off
	s_mov_b32 s5, exec_lo
                                        ; implicit-def: $vgpr8
	s_waitcnt vmcnt(0)
	v_and_b32_e32 v7, 0x7f800000, v6
	s_delay_alu instid0(VALU_DEP_1)
	v_cmpx_ne_u32_e32 0x7f800000, v7
	s_xor_b32 s5, exec_lo, s5
; %bb.8:
	v_bfe_u32 v7, v6, 16, 1
	s_delay_alu instid0(VALU_DEP_1)
	v_add3_u32 v8, v6, v7, 0x7fff
                                        ; implicit-def: $vgpr6
; %bb.9:
	s_and_not1_saveexec_b32 s5, s5
; %bb.10:
	v_and_b32_e32 v7, 0xffff, v6
	v_or_b32_e32 v8, 0x10000, v6
	s_delay_alu instid0(VALU_DEP_2) | instskip(NEXT) | instid1(VALU_DEP_2)
	v_cmp_eq_u32_e32 vcc_lo, 0, v7
	v_cndmask_b32_e32 v8, v8, v6, vcc_lo
; %bb.11:
	s_or_b32 exec_lo, exec_lo, s5
	v_add_co_u32 v6, vcc_lo, s4, v2
	v_add_co_ci_u32_e32 v7, vcc_lo, s0, v3, vcc_lo
	s_mov_b32 s5, exec_lo
	global_load_b32 v9, v[6:7], off
	v_lshlrev_b64 v[6:7], 1, v[0:1]
	s_delay_alu instid0(VALU_DEP_1) | instskip(NEXT) | instid1(VALU_DEP_2)
	v_add_co_u32 v10, vcc_lo, s1, v6
	v_add_co_ci_u32_e32 v11, vcc_lo, s3, v7, vcc_lo
	global_store_d16_hi_b16 v[10:11], v8, off
                                        ; implicit-def: $vgpr8
	s_waitcnt vmcnt(0)
	v_and_b32_e32 v12, 0x7f800000, v9
	s_delay_alu instid0(VALU_DEP_1)
	v_cmpx_ne_u32_e32 0x7f800000, v12
	s_xor_b32 s5, exec_lo, s5
; %bb.12:
	v_bfe_u32 v8, v9, 16, 1
	s_delay_alu instid0(VALU_DEP_1)
	v_add3_u32 v8, v9, v8, 0x7fff
                                        ; implicit-def: $vgpr9
; %bb.13:
	s_and_not1_saveexec_b32 s5, s5
; %bb.14:
	v_and_b32_e32 v8, 0xffff, v9
	v_or_b32_e32 v10, 0x10000, v9
	s_delay_alu instid0(VALU_DEP_2) | instskip(NEXT) | instid1(VALU_DEP_2)
	v_cmp_eq_u32_e32 vcc_lo, 0, v8
	v_cndmask_b32_e32 v8, v10, v9, vcc_lo
; %bb.15:
	s_or_b32 exec_lo, exec_lo, s5
	v_add_co_u32 v6, vcc_lo, s6, v6
	v_add_co_ci_u32_e32 v7, vcc_lo, s7, v7, vcc_lo
	s_mov_b32 s5, 0
	global_store_d16_hi_b16 v[6:7], v8, off
.LBB0_16:
	s_and_b32 vcc_lo, exec_lo, s5
	s_cbranch_vccz .LBB0_18
; %bb.17:
	v_add_co_u32 v6, vcc_lo, s4, v2
	v_add_co_ci_u32_e32 v7, vcc_lo, s0, v3, vcc_lo
	s_clause 0x1
	global_load_b32 v10, v[4:5], off
	global_load_b32 v11, v[6:7], off
	v_add_co_u32 v6, vcc_lo, s1, v2
	v_add_co_ci_u32_e32 v7, vcc_lo, s3, v3, vcc_lo
	v_add_co_u32 v8, vcc_lo, s6, v2
	v_add_co_ci_u32_e32 v9, vcc_lo, s7, v3, vcc_lo
	s_waitcnt vmcnt(1)
	global_store_b32 v[6:7], v10, off
	s_waitcnt vmcnt(0)
	global_store_b32 v[8:9], v11, off
.LBB0_18:
	v_or_b32_e32 v6, 1, v0
	v_cndmask_b32_e64 v8, 0, 1, s8
	s_mov_b32 s5, exec_lo
	s_delay_alu instid0(VALU_DEP_2)
	v_cmpx_gt_i32_e64 s2, v6
	s_cbranch_execz .LBB0_31
; %bb.19:
	s_and_not1_b32 vcc_lo, exec_lo, s8
	s_mov_b32 s8, -1
	s_cbranch_vccnz .LBB0_29
; %bb.20:
	global_load_b32 v6, v[4:5], off offset:4
	s_mov_b32 s8, exec_lo
                                        ; implicit-def: $vgpr9
	s_waitcnt vmcnt(0)
	v_and_b32_e32 v7, 0x7f800000, v6
	s_delay_alu instid0(VALU_DEP_1)
	v_cmpx_ne_u32_e32 0x7f800000, v7
	s_xor_b32 s8, exec_lo, s8
; %bb.21:
	v_bfe_u32 v7, v6, 16, 1
	s_delay_alu instid0(VALU_DEP_1)
	v_add3_u32 v9, v6, v7, 0x7fff
                                        ; implicit-def: $vgpr6
; %bb.22:
	s_and_not1_saveexec_b32 s8, s8
; %bb.23:
	v_and_b32_e32 v7, 0xffff, v6
	v_or_b32_e32 v9, 0x10000, v6
	s_delay_alu instid0(VALU_DEP_2) | instskip(NEXT) | instid1(VALU_DEP_2)
	v_cmp_eq_u32_e32 vcc_lo, 0, v7
	v_cndmask_b32_e32 v9, v9, v6, vcc_lo
; %bb.24:
	s_or_b32 exec_lo, exec_lo, s8
	v_add_co_u32 v6, vcc_lo, s4, v2
	v_add_co_ci_u32_e32 v7, vcc_lo, s0, v3, vcc_lo
	s_mov_b32 s8, exec_lo
	global_load_b32 v10, v[6:7], off offset:4
	v_lshlrev_b64 v[6:7], 1, v[0:1]
	s_delay_alu instid0(VALU_DEP_1) | instskip(NEXT) | instid1(VALU_DEP_2)
	v_add_co_u32 v11, vcc_lo, s1, v6
	v_add_co_ci_u32_e32 v12, vcc_lo, s3, v7, vcc_lo
	global_store_d16_hi_b16 v[11:12], v9, off offset:2
                                        ; implicit-def: $vgpr9
	s_waitcnt vmcnt(0)
	v_and_b32_e32 v13, 0x7f800000, v10
	s_delay_alu instid0(VALU_DEP_1)
	v_cmpx_ne_u32_e32 0x7f800000, v13
	s_xor_b32 s8, exec_lo, s8
; %bb.25:
	v_bfe_u32 v9, v10, 16, 1
	s_delay_alu instid0(VALU_DEP_1)
	v_add3_u32 v9, v10, v9, 0x7fff
                                        ; implicit-def: $vgpr10
; %bb.26:
	s_and_not1_saveexec_b32 s8, s8
; %bb.27:
	v_and_b32_e32 v9, 0xffff, v10
	v_or_b32_e32 v11, 0x10000, v10
	s_delay_alu instid0(VALU_DEP_2) | instskip(NEXT) | instid1(VALU_DEP_2)
	v_cmp_eq_u32_e32 vcc_lo, 0, v9
	v_cndmask_b32_e32 v9, v11, v10, vcc_lo
; %bb.28:
	s_or_b32 exec_lo, exec_lo, s8
	v_add_co_u32 v6, vcc_lo, s6, v6
	v_add_co_ci_u32_e32 v7, vcc_lo, s7, v7, vcc_lo
	s_mov_b32 s8, 0
	global_store_d16_hi_b16 v[6:7], v9, off offset:2
.LBB0_29:
	s_and_b32 vcc_lo, exec_lo, s8
	s_cbranch_vccz .LBB0_31
; %bb.30:
	v_add_co_u32 v6, vcc_lo, s4, v2
	v_add_co_ci_u32_e32 v7, vcc_lo, s0, v3, vcc_lo
	s_clause 0x1
	global_load_b32 v11, v[4:5], off offset:4
	global_load_b32 v12, v[6:7], off offset:4
	v_add_co_u32 v6, vcc_lo, s1, v2
	v_add_co_ci_u32_e32 v7, vcc_lo, s3, v3, vcc_lo
	v_add_co_u32 v9, vcc_lo, s6, v2
	v_add_co_ci_u32_e32 v10, vcc_lo, s7, v3, vcc_lo
	s_waitcnt vmcnt(1)
	global_store_b32 v[6:7], v11, off offset:4
	s_waitcnt vmcnt(0)
	global_store_b32 v[9:10], v12, off offset:4
.LBB0_31:
	s_or_b32 exec_lo, exec_lo, s5
	v_or_b32_e32 v6, 2, v0
	s_mov_b32 s5, exec_lo
	s_delay_alu instid0(VALU_DEP_1)
	v_cmpx_gt_i32_e64 s2, v6
	s_cbranch_execz .LBB0_44
; %bb.32:
	v_cmp_ne_u32_e32 vcc_lo, 1, v8
	s_mov_b32 s8, -1
	s_cbranch_vccnz .LBB0_42
; %bb.33:
	global_load_b32 v6, v[4:5], off offset:8
	s_mov_b32 s8, exec_lo
                                        ; implicit-def: $vgpr9
	s_waitcnt vmcnt(0)
	v_and_b32_e32 v7, 0x7f800000, v6
	s_delay_alu instid0(VALU_DEP_1)
	v_cmpx_ne_u32_e32 0x7f800000, v7
	s_xor_b32 s8, exec_lo, s8
; %bb.34:
	v_bfe_u32 v7, v6, 16, 1
	s_delay_alu instid0(VALU_DEP_1)
	v_add3_u32 v9, v6, v7, 0x7fff
                                        ; implicit-def: $vgpr6
; %bb.35:
	s_and_not1_saveexec_b32 s8, s8
; %bb.36:
	v_and_b32_e32 v7, 0xffff, v6
	v_or_b32_e32 v9, 0x10000, v6
	s_delay_alu instid0(VALU_DEP_2) | instskip(NEXT) | instid1(VALU_DEP_2)
	v_cmp_eq_u32_e32 vcc_lo, 0, v7
	v_cndmask_b32_e32 v9, v9, v6, vcc_lo
; %bb.37:
	s_or_b32 exec_lo, exec_lo, s8
	v_add_co_u32 v6, vcc_lo, s4, v2
	v_add_co_ci_u32_e32 v7, vcc_lo, s0, v3, vcc_lo
	s_mov_b32 s8, exec_lo
	global_load_b32 v10, v[6:7], off offset:8
	v_lshlrev_b64 v[6:7], 1, v[0:1]
	s_delay_alu instid0(VALU_DEP_1) | instskip(NEXT) | instid1(VALU_DEP_2)
	v_add_co_u32 v11, vcc_lo, s1, v6
	v_add_co_ci_u32_e32 v12, vcc_lo, s3, v7, vcc_lo
	global_store_d16_hi_b16 v[11:12], v9, off offset:4
                                        ; implicit-def: $vgpr9
	s_waitcnt vmcnt(0)
	v_and_b32_e32 v13, 0x7f800000, v10
	s_delay_alu instid0(VALU_DEP_1)
	v_cmpx_ne_u32_e32 0x7f800000, v13
	s_xor_b32 s8, exec_lo, s8
; %bb.38:
	v_bfe_u32 v9, v10, 16, 1
	s_delay_alu instid0(VALU_DEP_1)
	v_add3_u32 v9, v10, v9, 0x7fff
                                        ; implicit-def: $vgpr10
; %bb.39:
	s_and_not1_saveexec_b32 s8, s8
; %bb.40:
	v_and_b32_e32 v9, 0xffff, v10
	v_or_b32_e32 v11, 0x10000, v10
	s_delay_alu instid0(VALU_DEP_2) | instskip(NEXT) | instid1(VALU_DEP_2)
	v_cmp_eq_u32_e32 vcc_lo, 0, v9
	v_cndmask_b32_e32 v9, v11, v10, vcc_lo
; %bb.41:
	s_or_b32 exec_lo, exec_lo, s8
	v_add_co_u32 v6, vcc_lo, s6, v6
	v_add_co_ci_u32_e32 v7, vcc_lo, s7, v7, vcc_lo
	s_mov_b32 s8, 0
	global_store_d16_hi_b16 v[6:7], v9, off offset:4
.LBB0_42:
	s_and_b32 vcc_lo, exec_lo, s8
	s_cbranch_vccz .LBB0_44
; %bb.43:
	v_add_co_u32 v6, vcc_lo, s4, v2
	v_add_co_ci_u32_e32 v7, vcc_lo, s0, v3, vcc_lo
	s_clause 0x1
	global_load_b32 v11, v[4:5], off offset:8
	global_load_b32 v12, v[6:7], off offset:8
	v_add_co_u32 v6, vcc_lo, s1, v2
	v_add_co_ci_u32_e32 v7, vcc_lo, s3, v3, vcc_lo
	v_add_co_u32 v9, vcc_lo, s6, v2
	v_add_co_ci_u32_e32 v10, vcc_lo, s7, v3, vcc_lo
	s_waitcnt vmcnt(1)
	global_store_b32 v[6:7], v11, off offset:8
	s_waitcnt vmcnt(0)
	global_store_b32 v[9:10], v12, off offset:8
.LBB0_44:
	s_or_b32 exec_lo, exec_lo, s5
	v_or_b32_e32 v6, 3, v0
	s_delay_alu instid0(VALU_DEP_1)
	v_cmp_gt_i32_e32 vcc_lo, s2, v6
	s_and_b32 exec_lo, exec_lo, vcc_lo
	s_cbranch_execz .LBB0_57
; %bb.45:
	v_cmp_ne_u32_e32 vcc_lo, 1, v8
	s_mov_b32 s2, -1
	s_cbranch_vccnz .LBB0_55
; %bb.46:
	global_load_b32 v7, v[4:5], off offset:12
	s_waitcnt vmcnt(0)
	v_and_b32_e32 v6, 0x7f800000, v7
	s_delay_alu instid0(VALU_DEP_1) | instskip(SKIP_1) | instid1(SALU_CYCLE_1)
	v_cmp_ne_u32_e32 vcc_lo, 0x7f800000, v6
                                        ; implicit-def: $vgpr6
	s_and_saveexec_b32 s2, vcc_lo
	s_xor_b32 s2, exec_lo, s2
; %bb.47:
	v_bfe_u32 v6, v7, 16, 1
	s_delay_alu instid0(VALU_DEP_1)
	v_add3_u32 v6, v7, v6, 0x7fff
                                        ; implicit-def: $vgpr7
; %bb.48:
	s_and_not1_saveexec_b32 s2, s2
; %bb.49:
	v_and_b32_e32 v6, 0xffff, v7
	v_or_b32_e32 v8, 0x10000, v7
	s_delay_alu instid0(VALU_DEP_2) | instskip(NEXT) | instid1(VALU_DEP_2)
	v_cmp_eq_u32_e32 vcc_lo, 0, v6
	v_cndmask_b32_e32 v6, v8, v7, vcc_lo
; %bb.50:
	s_or_b32 exec_lo, exec_lo, s2
	v_add_co_u32 v7, vcc_lo, s4, v2
	v_add_co_ci_u32_e32 v8, vcc_lo, s0, v3, vcc_lo
	v_lshlrev_b64 v[0:1], 1, v[0:1]
	s_mov_b32 s2, exec_lo
	global_load_b32 v7, v[7:8], off offset:12
	v_add_co_u32 v8, vcc_lo, s1, v0
	v_add_co_ci_u32_e32 v9, vcc_lo, s3, v1, vcc_lo
	global_store_d16_hi_b16 v[8:9], v6, off offset:6
                                        ; implicit-def: $vgpr6
	s_waitcnt vmcnt(0)
	v_and_b32_e32 v10, 0x7f800000, v7
	s_delay_alu instid0(VALU_DEP_1)
	v_cmpx_ne_u32_e32 0x7f800000, v10
	s_xor_b32 s2, exec_lo, s2
; %bb.51:
	v_bfe_u32 v6, v7, 16, 1
	s_delay_alu instid0(VALU_DEP_1)
	v_add3_u32 v6, v7, v6, 0x7fff
                                        ; implicit-def: $vgpr7
; %bb.52:
	s_and_not1_saveexec_b32 s2, s2
; %bb.53:
	v_and_b32_e32 v6, 0xffff, v7
	v_or_b32_e32 v8, 0x10000, v7
	s_delay_alu instid0(VALU_DEP_2) | instskip(NEXT) | instid1(VALU_DEP_2)
	v_cmp_eq_u32_e32 vcc_lo, 0, v6
	v_cndmask_b32_e32 v6, v8, v7, vcc_lo
; %bb.54:
	s_or_b32 exec_lo, exec_lo, s2
	v_add_co_u32 v0, vcc_lo, s6, v0
	v_add_co_ci_u32_e32 v1, vcc_lo, s7, v1, vcc_lo
	s_mov_b32 s2, 0
	global_store_d16_hi_b16 v[0:1], v6, off offset:6
.LBB0_55:
	s_and_b32 vcc_lo, exec_lo, s2
	s_cbranch_vccz .LBB0_57
; %bb.56:
	v_add_co_u32 v0, vcc_lo, s4, v2
	v_add_co_ci_u32_e32 v1, vcc_lo, s0, v3, vcc_lo
	s_clause 0x1
	global_load_b32 v4, v[4:5], off offset:12
	global_load_b32 v5, v[0:1], off offset:12
	v_add_co_u32 v0, vcc_lo, s1, v2
	v_add_co_ci_u32_e32 v1, vcc_lo, s3, v3, vcc_lo
	v_add_co_u32 v2, vcc_lo, s6, v2
	v_add_co_ci_u32_e32 v3, vcc_lo, s7, v3, vcc_lo
	s_waitcnt vmcnt(1)
	global_store_b32 v[0:1], v4, off offset:12
	s_waitcnt vmcnt(0)
	global_store_b32 v[2:3], v5, off offset:12
.LBB0_57:
	s_nop 0
	s_sendmsg sendmsg(MSG_DEALLOC_VGPRS)
	s_endpgm
	.section	.rodata,"a",@progbits
	.p2align	6, 0x0
	.amdhsa_kernel _Z16split_qkv_kernelILi4EEvPKfPfPvS3_iiiiiPKiiS5_xiiPKxS5_S5_
		.amdhsa_group_segment_fixed_size 0
		.amdhsa_private_segment_fixed_size 0
		.amdhsa_kernarg_size 376
		.amdhsa_user_sgpr_count 14
		.amdhsa_user_sgpr_dispatch_ptr 0
		.amdhsa_user_sgpr_queue_ptr 0
		.amdhsa_user_sgpr_kernarg_segment_ptr 1
		.amdhsa_user_sgpr_dispatch_id 0
		.amdhsa_user_sgpr_private_segment_size 0
		.amdhsa_wavefront_size32 1
		.amdhsa_uses_dynamic_stack 0
		.amdhsa_enable_private_segment 0
		.amdhsa_system_sgpr_workgroup_id_x 1
		.amdhsa_system_sgpr_workgroup_id_y 1
		.amdhsa_system_sgpr_workgroup_id_z 0
		.amdhsa_system_sgpr_workgroup_info 0
		.amdhsa_system_vgpr_workitem_id 0
		.amdhsa_next_free_vgpr 14
		.amdhsa_next_free_sgpr 24
		.amdhsa_reserve_vcc 1
		.amdhsa_float_round_mode_32 0
		.amdhsa_float_round_mode_16_64 0
		.amdhsa_float_denorm_mode_32 3
		.amdhsa_float_denorm_mode_16_64 3
		.amdhsa_dx10_clamp 1
		.amdhsa_ieee_mode 1
		.amdhsa_fp16_overflow 0
		.amdhsa_workgroup_processor_mode 1
		.amdhsa_memory_ordered 1
		.amdhsa_forward_progress 0
		.amdhsa_shared_vgpr_count 0
		.amdhsa_exception_fp_ieee_invalid_op 0
		.amdhsa_exception_fp_denorm_src 0
		.amdhsa_exception_fp_ieee_div_zero 0
		.amdhsa_exception_fp_ieee_overflow 0
		.amdhsa_exception_fp_ieee_underflow 0
		.amdhsa_exception_fp_ieee_inexact 0
		.amdhsa_exception_int_div_zero 0
	.end_amdhsa_kernel
	.section	.text._Z16split_qkv_kernelILi4EEvPKfPfPvS3_iiiiiPKiiS5_xiiPKxS5_S5_,"axG",@progbits,_Z16split_qkv_kernelILi4EEvPKfPfPvS3_iiiiiPKiiS5_xiiPKxS5_S5_,comdat
.Lfunc_end0:
	.size	_Z16split_qkv_kernelILi4EEvPKfPfPvS3_iiiiiPKiiS5_xiiPKxS5_S5_, .Lfunc_end0-_Z16split_qkv_kernelILi4EEvPKfPfPvS3_iiiiiPKiiS5_xiiPKxS5_S5_
                                        ; -- End function
	.section	.AMDGPU.csdata,"",@progbits
; Kernel info:
; codeLenInByte = 2296
; NumSgprs: 26
; NumVgprs: 14
; ScratchSize: 0
; MemoryBound: 0
; FloatMode: 240
; IeeeMode: 1
; LDSByteSize: 0 bytes/workgroup (compile time only)
; SGPRBlocks: 3
; VGPRBlocks: 1
; NumSGPRsForWavesPerEU: 26
; NumVGPRsForWavesPerEU: 14
; Occupancy: 16
; WaveLimiterHint : 1
; COMPUTE_PGM_RSRC2:SCRATCH_EN: 0
; COMPUTE_PGM_RSRC2:USER_SGPR: 14
; COMPUTE_PGM_RSRC2:TRAP_HANDLER: 0
; COMPUTE_PGM_RSRC2:TGID_X_EN: 1
; COMPUTE_PGM_RSRC2:TGID_Y_EN: 1
; COMPUTE_PGM_RSRC2:TGID_Z_EN: 0
; COMPUTE_PGM_RSRC2:TIDIG_COMP_CNT: 0
	.section	.text._Z16split_qkv_kernelILi1EEvPKfPfPvS3_iiiiiPKiiS5_xiiPKxS5_S5_,"axG",@progbits,_Z16split_qkv_kernelILi1EEvPKfPfPvS3_iiiiiPKiiS5_xiiPKxS5_S5_,comdat
	.protected	_Z16split_qkv_kernelILi1EEvPKfPfPvS3_iiiiiPKiiS5_xiiPKxS5_S5_ ; -- Begin function _Z16split_qkv_kernelILi1EEvPKfPfPvS3_iiiiiPKiiS5_xiiPKxS5_S5_
	.globl	_Z16split_qkv_kernelILi1EEvPKfPfPvS3_iiiiiPKiiS5_xiiPKxS5_S5_
	.p2align	8
	.type	_Z16split_qkv_kernelILi1EEvPKfPfPvS3_iiiiiPKiiS5_xiiPKxS5_S5_,@function
_Z16split_qkv_kernelILi1EEvPKfPfPvS3_iiiiiPKiiS5_xiiPKxS5_S5_: ; @_Z16split_qkv_kernelILi1EEvPKfPfPvS3_iiiiiPKiiS5_xiiPKxS5_S5_
; %bb.0:
	s_load_b128 s[4:7], s[0:1], 0x20
	s_waitcnt lgkmcnt(0)
	s_cmp_ge_i32 s15, s4
	s_cbranch_scc1 .LBB1_18
; %bb.1:
	s_clause 0x3
	s_load_b32 s10, s[0:1], 0x30
	s_load_b128 s[16:19], s[0:1], 0x60
	s_load_b64 s[20:21], s[0:1], 0x70
	s_load_b64 s[22:23], s[0:1], 0x38
	s_mov_b32 s8, s15
	s_clause 0x1
	s_load_b64 s[12:13], s[0:1], 0x0
	s_load_b32 s4, s[0:1], 0x84
	s_waitcnt lgkmcnt(0)
	s_ashr_i32 s11, s10, 31
	s_delay_alu instid0(SALU_CYCLE_1) | instskip(NEXT) | instid1(SALU_CYCLE_1)
	s_lshl_b64 s[2:3], s[10:11], 3
	s_add_u32 s2, s16, s2
	s_addc_u32 s3, s17, s3
	s_load_b64 s[16:17], s[0:1], 0x48
	s_lshl_b64 s[10:11], s[10:11], 2
	s_delay_alu instid0(SALU_CYCLE_1)
	s_add_u32 s18, s18, s10
	s_addc_u32 s19, s19, s11
	s_add_u32 s10, s20, s10
	s_addc_u32 s11, s21, s11
	s_ashr_i32 s9, s15, 31
	s_load_b32 s24, s[10:11], 0x0
	s_lshl_b64 s[20:21], s[8:9], 2
	s_delay_alu instid0(SALU_CYCLE_1)
	s_add_u32 s10, s22, s20
	s_addc_u32 s11, s23, s21
	s_load_b32 s9, s[18:19], 0x0
	s_load_b32 s15, s[10:11], 0x0
	s_waitcnt lgkmcnt(0)
	s_add_u32 s10, s16, s20
	s_addc_u32 s11, s17, s21
	s_cmp_eq_u32 s24, 0
	s_cbranch_scc1 .LBB1_3
; %bb.2:
	s_abs_i32 s16, s9
	s_abs_i32 s19, s15
	v_cvt_f32_u32_e32 v1, s16
	s_sub_i32 s18, 0, s16
	s_ashr_i32 s15, s15, 31
	s_delay_alu instid0(VALU_DEP_1) | instskip(SKIP_2) | instid1(VALU_DEP_1)
	v_rcp_iflag_f32_e32 v1, v1
	s_waitcnt_depctr 0xfff
	v_mul_f32_e32 v1, 0x4f7ffffe, v1
	v_cvt_u32_f32_e32 v1, v1
	s_delay_alu instid0(VALU_DEP_1) | instskip(NEXT) | instid1(VALU_DEP_1)
	v_readfirstlane_b32 s17, v1
	s_mul_i32 s18, s18, s17
	s_delay_alu instid0(SALU_CYCLE_1) | instskip(NEXT) | instid1(SALU_CYCLE_1)
	s_mul_hi_u32 s18, s17, s18
	s_add_i32 s17, s17, s18
	s_delay_alu instid0(SALU_CYCLE_1) | instskip(NEXT) | instid1(SALU_CYCLE_1)
	s_mul_hi_u32 s17, s19, s17
	s_mul_i32 s17, s17, s16
	s_delay_alu instid0(SALU_CYCLE_1) | instskip(NEXT) | instid1(SALU_CYCLE_1)
	s_sub_i32 s17, s19, s17
	s_sub_i32 s18, s17, s16
	s_cmp_ge_u32 s17, s16
	s_cselect_b32 s17, s18, s17
	s_delay_alu instid0(SALU_CYCLE_1) | instskip(SKIP_2) | instid1(SALU_CYCLE_1)
	s_sub_i32 s18, s17, s16
	s_cmp_ge_u32 s17, s16
	s_cselect_b32 s16, s18, s17
	s_xor_b32 s16, s16, s15
	s_delay_alu instid0(SALU_CYCLE_1)
	s_sub_i32 s15, s16, s15
.LBB1_3:
	s_and_b32 s4, 0xffff, s4
	s_lshl_b32 s7, s7, 1
	v_mad_u64_u32 v[1:2], null, s14, s4, v[0:1]
	s_add_i32 s7, s7, s6
	s_delay_alu instid0(SALU_CYCLE_1) | instskip(NEXT) | instid1(SALU_CYCLE_1)
	s_mul_i32 s4, s7, s5
	s_mul_hi_i32 s17, s4, s8
	s_mul_i32 s16, s4, s8
	s_mul_i32 s4, s6, s5
	s_lshl_b64 s[6:7], s[16:17], 2
	s_delay_alu instid0(VALU_DEP_1)
	v_ashrrev_i32_e32 v2, 31, v1
	s_add_u32 s12, s12, s6
	s_addc_u32 s13, s13, s7
	s_ashr_i32 s5, s4, 31
	s_mov_b32 s6, exec_lo
	v_cmpx_gt_i32_e64 s4, v1
	s_cbranch_execz .LBB1_5
; %bb.4:
	v_lshlrev_b64 v[3:4], 2, v[1:2]
	s_load_b64 s[16:17], s[0:1], 0x8
	s_mul_hi_i32 s19, s4, s8
	s_mul_i32 s18, s4, s8
	s_delay_alu instid0(SALU_CYCLE_1) | instskip(NEXT) | instid1(VALU_DEP_1)
	s_lshl_b64 s[18:19], s[18:19], 2
	v_add_co_u32 v5, vcc_lo, s12, v3
	v_add_co_ci_u32_e32 v6, vcc_lo, s13, v4, vcc_lo
	global_load_b32 v0, v[5:6], off
	s_waitcnt lgkmcnt(0)
	s_add_u32 s7, s16, s18
	s_addc_u32 s8, s17, s19
	v_add_co_u32 v3, vcc_lo, s7, v3
	v_add_co_ci_u32_e32 v4, vcc_lo, s8, v4, vcc_lo
	s_waitcnt vmcnt(0)
	global_store_b32 v[3:4], v0, off
.LBB1_5:
	s_or_b32 exec_lo, exec_lo, s6
	s_load_b64 s[6:7], s[0:1], 0x58
	s_mov_b32 s8, exec_lo
	s_waitcnt lgkmcnt(0)
	v_cmpx_gt_i32_e64 s6, v1
	s_cbranch_execz .LBB1_18
; %bb.6:
	s_load_b32 s8, s[10:11], 0x0
	s_load_b64 s[2:3], s[2:3], 0x0
	s_load_b128 s[16:19], s[0:1], 0x10
	s_ashr_i32 s11, s6, 31
	s_ashr_i32 s0, s15, 31
	v_lshlrev_b64 v[3:4], 2, v[1:2]
	s_mov_b32 s10, s6
	s_waitcnt lgkmcnt(0)
	s_mul_i32 s1, s8, s9
	s_mul_hi_i32 s8, s8, s9
	s_add_u32 s1, s1, s15
	s_addc_u32 s0, s8, s0
	s_mul_i32 s8, s1, s11
	s_mul_hi_u32 s9, s1, s6
	s_mul_i32 s0, s0, s6
	s_add_i32 s8, s9, s8
	s_mul_i32 s1, s1, s6
	s_add_i32 s8, s8, s0
	s_add_u32 s0, s1, s2
	s_addc_u32 s1, s8, s3
	s_cmp_eq_u32 s7, 0
	s_cselect_b32 s2, -1, 0
	s_delay_alu instid0(SALU_CYCLE_1) | instskip(SKIP_1) | instid1(SALU_CYCLE_1)
	s_and_b32 vcc_lo, s2, exec_lo
	s_cselect_b32 s2, 2, 1
	s_lshl_b64 s[8:9], s[0:1], s2
	s_delay_alu instid0(SALU_CYCLE_1) | instskip(SKIP_4) | instid1(SALU_CYCLE_1)
	s_add_u32 s1, s16, s8
	s_addc_u32 s2, s17, s9
	s_add_u32 s3, s18, s8
	s_addc_u32 s6, s19, s9
	s_lshl_b64 s[4:5], s[4:5], 2
	s_add_u32 s0, s12, s4
	s_addc_u32 s7, s13, s5
	s_lshl_b64 s[4:5], s[10:11], 2
	s_delay_alu instid0(SALU_CYCLE_1) | instskip(SKIP_1) | instid1(VALU_DEP_1)
	s_add_u32 s4, s0, s4
	v_add_co_u32 v5, s0, s0, v3
	v_add_co_ci_u32_e64 v6, s0, s7, v4, s0
	s_addc_u32 s0, s7, s5
	s_mov_b32 s5, -1
	s_cbranch_vccnz .LBB1_16
; %bb.7:
	global_load_b32 v0, v[5:6], off
	s_waitcnt vmcnt(0)
	v_and_b32_e32 v7, 0x7f800000, v0
	s_delay_alu instid0(VALU_DEP_1) | instskip(SKIP_1) | instid1(SALU_CYCLE_1)
	v_cmp_ne_u32_e32 vcc_lo, 0x7f800000, v7
                                        ; implicit-def: $vgpr7
	s_and_saveexec_b32 s5, vcc_lo
	s_xor_b32 s5, exec_lo, s5
; %bb.8:
	v_bfe_u32 v7, v0, 16, 1
	s_delay_alu instid0(VALU_DEP_1)
	v_add3_u32 v7, v0, v7, 0x7fff
                                        ; implicit-def: $vgpr0
; %bb.9:
	s_and_not1_saveexec_b32 s5, s5
; %bb.10:
	v_and_b32_e32 v7, 0xffff, v0
	v_or_b32_e32 v8, 0x10000, v0
	s_delay_alu instid0(VALU_DEP_2) | instskip(NEXT) | instid1(VALU_DEP_2)
	v_cmp_eq_u32_e32 vcc_lo, 0, v7
	v_cndmask_b32_e32 v7, v8, v0, vcc_lo
; %bb.11:
	s_or_b32 exec_lo, exec_lo, s5
	v_add_co_u32 v8, vcc_lo, s4, v3
	v_add_co_ci_u32_e32 v9, vcc_lo, s0, v4, vcc_lo
	v_lshlrev_b64 v[0:1], 1, v[1:2]
	global_load_b32 v8, v[8:9], off
	v_add_co_u32 v9, vcc_lo, s1, v0
	v_add_co_ci_u32_e32 v10, vcc_lo, s2, v1, vcc_lo
	global_store_d16_hi_b16 v[9:10], v7, off
	s_waitcnt vmcnt(0)
	v_and_b32_e32 v2, 0x7f800000, v8
	s_delay_alu instid0(VALU_DEP_1) | instskip(SKIP_1) | instid1(SALU_CYCLE_1)
	v_cmp_ne_u32_e32 vcc_lo, 0x7f800000, v2
                                        ; implicit-def: $vgpr2
	s_and_saveexec_b32 s5, vcc_lo
	s_xor_b32 s5, exec_lo, s5
; %bb.12:
	v_bfe_u32 v2, v8, 16, 1
	s_delay_alu instid0(VALU_DEP_1)
	v_add3_u32 v2, v8, v2, 0x7fff
                                        ; implicit-def: $vgpr8
; %bb.13:
	s_and_not1_saveexec_b32 s5, s5
; %bb.14:
	v_and_b32_e32 v2, 0xffff, v8
	v_or_b32_e32 v7, 0x10000, v8
	s_delay_alu instid0(VALU_DEP_2) | instskip(NEXT) | instid1(VALU_DEP_2)
	v_cmp_eq_u32_e32 vcc_lo, 0, v2
	v_cndmask_b32_e32 v2, v7, v8, vcc_lo
; %bb.15:
	s_or_b32 exec_lo, exec_lo, s5
	v_add_co_u32 v0, vcc_lo, s3, v0
	v_add_co_ci_u32_e32 v1, vcc_lo, s6, v1, vcc_lo
	s_mov_b32 s5, 0
	global_store_d16_hi_b16 v[0:1], v2, off
.LBB1_16:
	s_and_b32 vcc_lo, exec_lo, s5
	s_cbranch_vccz .LBB1_18
; %bb.17:
	v_add_co_u32 v0, vcc_lo, s4, v3
	v_add_co_ci_u32_e32 v1, vcc_lo, s0, v4, vcc_lo
	s_clause 0x1
	global_load_b32 v5, v[5:6], off
	global_load_b32 v6, v[0:1], off
	v_add_co_u32 v0, vcc_lo, s1, v3
	v_add_co_ci_u32_e32 v1, vcc_lo, s2, v4, vcc_lo
	v_add_co_u32 v2, vcc_lo, s3, v3
	v_add_co_ci_u32_e32 v3, vcc_lo, s6, v4, vcc_lo
	s_waitcnt vmcnt(1)
	global_store_b32 v[0:1], v5, off
	s_waitcnt vmcnt(0)
	global_store_b32 v[2:3], v6, off
.LBB1_18:
	s_nop 0
	s_sendmsg sendmsg(MSG_DEALLOC_VGPRS)
	s_endpgm
	.section	.rodata,"a",@progbits
	.p2align	6, 0x0
	.amdhsa_kernel _Z16split_qkv_kernelILi1EEvPKfPfPvS3_iiiiiPKiiS5_xiiPKxS5_S5_
		.amdhsa_group_segment_fixed_size 0
		.amdhsa_private_segment_fixed_size 0
		.amdhsa_kernarg_size 376
		.amdhsa_user_sgpr_count 14
		.amdhsa_user_sgpr_dispatch_ptr 0
		.amdhsa_user_sgpr_queue_ptr 0
		.amdhsa_user_sgpr_kernarg_segment_ptr 1
		.amdhsa_user_sgpr_dispatch_id 0
		.amdhsa_user_sgpr_private_segment_size 0
		.amdhsa_wavefront_size32 1
		.amdhsa_uses_dynamic_stack 0
		.amdhsa_enable_private_segment 0
		.amdhsa_system_sgpr_workgroup_id_x 1
		.amdhsa_system_sgpr_workgroup_id_y 1
		.amdhsa_system_sgpr_workgroup_id_z 0
		.amdhsa_system_sgpr_workgroup_info 0
		.amdhsa_system_vgpr_workitem_id 0
		.amdhsa_next_free_vgpr 11
		.amdhsa_next_free_sgpr 25
		.amdhsa_reserve_vcc 1
		.amdhsa_float_round_mode_32 0
		.amdhsa_float_round_mode_16_64 0
		.amdhsa_float_denorm_mode_32 3
		.amdhsa_float_denorm_mode_16_64 3
		.amdhsa_dx10_clamp 1
		.amdhsa_ieee_mode 1
		.amdhsa_fp16_overflow 0
		.amdhsa_workgroup_processor_mode 1
		.amdhsa_memory_ordered 1
		.amdhsa_forward_progress 0
		.amdhsa_shared_vgpr_count 0
		.amdhsa_exception_fp_ieee_invalid_op 0
		.amdhsa_exception_fp_denorm_src 0
		.amdhsa_exception_fp_ieee_div_zero 0
		.amdhsa_exception_fp_ieee_overflow 0
		.amdhsa_exception_fp_ieee_underflow 0
		.amdhsa_exception_fp_ieee_inexact 0
		.amdhsa_exception_int_div_zero 0
	.end_amdhsa_kernel
	.section	.text._Z16split_qkv_kernelILi1EEvPKfPfPvS3_iiiiiPKiiS5_xiiPKxS5_S5_,"axG",@progbits,_Z16split_qkv_kernelILi1EEvPKfPfPvS3_iiiiiPKiiS5_xiiPKxS5_S5_,comdat
.Lfunc_end1:
	.size	_Z16split_qkv_kernelILi1EEvPKfPfPvS3_iiiiiPKiiS5_xiiPKxS5_S5_, .Lfunc_end1-_Z16split_qkv_kernelILi1EEvPKfPfPvS3_iiiiiPKiiS5_xiiPKxS5_S5_
                                        ; -- End function
	.section	.AMDGPU.csdata,"",@progbits
; Kernel info:
; codeLenInByte = 1088
; NumSgprs: 27
; NumVgprs: 11
; ScratchSize: 0
; MemoryBound: 0
; FloatMode: 240
; IeeeMode: 1
; LDSByteSize: 0 bytes/workgroup (compile time only)
; SGPRBlocks: 3
; VGPRBlocks: 1
; NumSGPRsForWavesPerEU: 27
; NumVGPRsForWavesPerEU: 11
; Occupancy: 16
; WaveLimiterHint : 1
; COMPUTE_PGM_RSRC2:SCRATCH_EN: 0
; COMPUTE_PGM_RSRC2:USER_SGPR: 14
; COMPUTE_PGM_RSRC2:TRAP_HANDLER: 0
; COMPUTE_PGM_RSRC2:TGID_X_EN: 1
; COMPUTE_PGM_RSRC2:TGID_Y_EN: 1
; COMPUTE_PGM_RSRC2:TGID_Z_EN: 0
; COMPUTE_PGM_RSRC2:TIDIG_COMP_CNT: 0
	.text
	.p2alignl 7, 3214868480
	.fill 96, 4, 3214868480
	.type	__hip_cuid_8385d9d319193329,@object ; @__hip_cuid_8385d9d319193329
	.section	.bss,"aw",@nobits
	.globl	__hip_cuid_8385d9d319193329
__hip_cuid_8385d9d319193329:
	.byte	0                               ; 0x0
	.size	__hip_cuid_8385d9d319193329, 1

	.ident	"AMD clang version 19.0.0git (https://github.com/RadeonOpenCompute/llvm-project roc-6.4.0 25133 c7fe45cf4b819c5991fe208aaa96edf142730f1d)"
	.section	".note.GNU-stack","",@progbits
	.addrsig
	.addrsig_sym __hip_cuid_8385d9d319193329
	.amdgpu_metadata
---
amdhsa.kernels:
  - .args:
      - .actual_access:  read_only
        .address_space:  global
        .offset:         0
        .size:           8
        .value_kind:     global_buffer
      - .actual_access:  write_only
        .address_space:  global
        .offset:         8
        .size:           8
        .value_kind:     global_buffer
      - .actual_access:  write_only
        .address_space:  global
        .offset:         16
        .size:           8
        .value_kind:     global_buffer
      - .actual_access:  write_only
        .address_space:  global
        .offset:         24
        .size:           8
        .value_kind:     global_buffer
      - .offset:         32
        .size:           4
        .value_kind:     by_value
      - .offset:         36
        .size:           4
        .value_kind:     by_value
      - .offset:         40
        .size:           4
        .value_kind:     by_value
      - .offset:         44
        .size:           4
        .value_kind:     by_value
      - .offset:         48
        .size:           4
        .value_kind:     by_value
      - .actual_access:  read_only
        .address_space:  global
        .offset:         56
        .size:           8
        .value_kind:     global_buffer
      - .offset:         64
        .size:           4
        .value_kind:     by_value
      - .actual_access:  read_only
        .address_space:  global
        .offset:         72
        .size:           8
        .value_kind:     global_buffer
      - .offset:         80
        .size:           8
        .value_kind:     by_value
      - .offset:         88
        .size:           4
        .value_kind:     by_value
      - .offset:         92
        .size:           4
        .value_kind:     by_value
      - .actual_access:  read_only
        .address_space:  global
        .offset:         96
        .size:           8
        .value_kind:     global_buffer
      - .actual_access:  read_only
        .address_space:  global
        .offset:         104
        .size:           8
        .value_kind:     global_buffer
      - .actual_access:  read_only
        .address_space:  global
        .offset:         112
        .size:           8
        .value_kind:     global_buffer
      - .offset:         120
        .size:           4
        .value_kind:     hidden_block_count_x
      - .offset:         124
        .size:           4
        .value_kind:     hidden_block_count_y
      - .offset:         128
        .size:           4
        .value_kind:     hidden_block_count_z
      - .offset:         132
        .size:           2
        .value_kind:     hidden_group_size_x
      - .offset:         134
        .size:           2
        .value_kind:     hidden_group_size_y
      - .offset:         136
        .size:           2
        .value_kind:     hidden_group_size_z
      - .offset:         138
        .size:           2
        .value_kind:     hidden_remainder_x
      - .offset:         140
        .size:           2
        .value_kind:     hidden_remainder_y
      - .offset:         142
        .size:           2
        .value_kind:     hidden_remainder_z
      - .offset:         160
        .size:           8
        .value_kind:     hidden_global_offset_x
      - .offset:         168
        .size:           8
        .value_kind:     hidden_global_offset_y
      - .offset:         176
        .size:           8
        .value_kind:     hidden_global_offset_z
      - .offset:         184
        .size:           2
        .value_kind:     hidden_grid_dims
    .group_segment_fixed_size: 0
    .kernarg_segment_align: 8
    .kernarg_segment_size: 376
    .language:       OpenCL C
    .language_version:
      - 2
      - 0
    .max_flat_workgroup_size: 1024
    .name:           _Z16split_qkv_kernelILi4EEvPKfPfPvS3_iiiiiPKiiS5_xiiPKxS5_S5_
    .private_segment_fixed_size: 0
    .sgpr_count:     26
    .sgpr_spill_count: 0
    .symbol:         _Z16split_qkv_kernelILi4EEvPKfPfPvS3_iiiiiPKiiS5_xiiPKxS5_S5_.kd
    .uniform_work_group_size: 1
    .uses_dynamic_stack: false
    .vgpr_count:     14
    .vgpr_spill_count: 0
    .wavefront_size: 32
    .workgroup_processor_mode: 1
  - .args:
      - .actual_access:  read_only
        .address_space:  global
        .offset:         0
        .size:           8
        .value_kind:     global_buffer
      - .actual_access:  write_only
        .address_space:  global
        .offset:         8
        .size:           8
        .value_kind:     global_buffer
      - .actual_access:  write_only
        .address_space:  global
        .offset:         16
        .size:           8
        .value_kind:     global_buffer
      - .actual_access:  write_only
        .address_space:  global
        .offset:         24
        .size:           8
        .value_kind:     global_buffer
      - .offset:         32
        .size:           4
        .value_kind:     by_value
      - .offset:         36
        .size:           4
        .value_kind:     by_value
      - .offset:         40
        .size:           4
        .value_kind:     by_value
      - .offset:         44
        .size:           4
        .value_kind:     by_value
      - .offset:         48
        .size:           4
        .value_kind:     by_value
      - .actual_access:  read_only
        .address_space:  global
        .offset:         56
        .size:           8
        .value_kind:     global_buffer
      - .offset:         64
        .size:           4
        .value_kind:     by_value
      - .actual_access:  read_only
        .address_space:  global
        .offset:         72
        .size:           8
        .value_kind:     global_buffer
      - .offset:         80
        .size:           8
        .value_kind:     by_value
      - .offset:         88
        .size:           4
        .value_kind:     by_value
      - .offset:         92
        .size:           4
        .value_kind:     by_value
      - .actual_access:  read_only
        .address_space:  global
        .offset:         96
        .size:           8
        .value_kind:     global_buffer
      - .actual_access:  read_only
        .address_space:  global
        .offset:         104
        .size:           8
        .value_kind:     global_buffer
      - .actual_access:  read_only
        .address_space:  global
        .offset:         112
        .size:           8
        .value_kind:     global_buffer
      - .offset:         120
        .size:           4
        .value_kind:     hidden_block_count_x
      - .offset:         124
        .size:           4
        .value_kind:     hidden_block_count_y
      - .offset:         128
        .size:           4
        .value_kind:     hidden_block_count_z
      - .offset:         132
        .size:           2
        .value_kind:     hidden_group_size_x
      - .offset:         134
        .size:           2
        .value_kind:     hidden_group_size_y
      - .offset:         136
        .size:           2
        .value_kind:     hidden_group_size_z
      - .offset:         138
        .size:           2
        .value_kind:     hidden_remainder_x
      - .offset:         140
        .size:           2
        .value_kind:     hidden_remainder_y
      - .offset:         142
        .size:           2
        .value_kind:     hidden_remainder_z
      - .offset:         160
        .size:           8
        .value_kind:     hidden_global_offset_x
      - .offset:         168
        .size:           8
        .value_kind:     hidden_global_offset_y
      - .offset:         176
        .size:           8
        .value_kind:     hidden_global_offset_z
      - .offset:         184
        .size:           2
        .value_kind:     hidden_grid_dims
    .group_segment_fixed_size: 0
    .kernarg_segment_align: 8
    .kernarg_segment_size: 376
    .language:       OpenCL C
    .language_version:
      - 2
      - 0
    .max_flat_workgroup_size: 1024
    .name:           _Z16split_qkv_kernelILi1EEvPKfPfPvS3_iiiiiPKiiS5_xiiPKxS5_S5_
    .private_segment_fixed_size: 0
    .sgpr_count:     27
    .sgpr_spill_count: 0
    .symbol:         _Z16split_qkv_kernelILi1EEvPKfPfPvS3_iiiiiPKiiS5_xiiPKxS5_S5_.kd
    .uniform_work_group_size: 1
    .uses_dynamic_stack: false
    .vgpr_count:     11
    .vgpr_spill_count: 0
    .wavefront_size: 32
    .workgroup_processor_mode: 1
amdhsa.target:   amdgcn-amd-amdhsa--gfx1100
amdhsa.version:
  - 1
  - 2
...

	.end_amdgpu_metadata
